;; amdgpu-corpus repo=ROCm/rocFFT kind=compiled arch=gfx950 opt=O3
	.text
	.amdgcn_target "amdgcn-amd-amdhsa--gfx950"
	.amdhsa_code_object_version 6
	.protected	fft_rtc_back_len1080_factors_6_10_6_3_wgs_216_tpt_108_halfLds_sp_op_CI_CI_unitstride_sbrr_R2C_dirReg ; -- Begin function fft_rtc_back_len1080_factors_6_10_6_3_wgs_216_tpt_108_halfLds_sp_op_CI_CI_unitstride_sbrr_R2C_dirReg
	.globl	fft_rtc_back_len1080_factors_6_10_6_3_wgs_216_tpt_108_halfLds_sp_op_CI_CI_unitstride_sbrr_R2C_dirReg
	.p2align	8
	.type	fft_rtc_back_len1080_factors_6_10_6_3_wgs_216_tpt_108_halfLds_sp_op_CI_CI_unitstride_sbrr_R2C_dirReg,@function
fft_rtc_back_len1080_factors_6_10_6_3_wgs_216_tpt_108_halfLds_sp_op_CI_CI_unitstride_sbrr_R2C_dirReg: ; @fft_rtc_back_len1080_factors_6_10_6_3_wgs_216_tpt_108_halfLds_sp_op_CI_CI_unitstride_sbrr_R2C_dirReg
; %bb.0:
	s_load_dwordx4 s[4:7], s[0:1], 0x58
	s_load_dwordx4 s[8:11], s[0:1], 0x0
	;; [unrolled: 1-line block ×3, first 2 shown]
	v_mul_u32_u24_e32 v1, 0x25f, v0
	v_lshrrev_b32_e32 v1, 16, v1
	v_lshl_add_u32 v6, s2, 1, v1
	v_mov_b32_e32 v4, 0
	s_waitcnt lgkmcnt(0)
	v_cmp_lt_u64_e64 s[2:3], s[10:11], 2
	v_mov_b32_e32 v7, v4
	s_and_b64 vcc, exec, s[2:3]
	v_mov_b64_e32 v[2:3], 0
	s_cbranch_vccnz .LBB0_8
; %bb.1:
	s_load_dwordx2 s[2:3], s[0:1], 0x10
	s_add_u32 s16, s14, 8
	s_addc_u32 s17, s15, 0
	s_add_u32 s18, s12, 8
	s_addc_u32 s19, s13, 0
	s_waitcnt lgkmcnt(0)
	s_add_u32 s20, s2, 8
	v_mov_b64_e32 v[2:3], 0
	s_addc_u32 s21, s3, 0
	s_mov_b64 s[22:23], 1
	v_mov_b64_e32 v[20:21], v[2:3]
.LBB0_2:                                ; =>This Inner Loop Header: Depth=1
	s_load_dwordx2 s[24:25], s[20:21], 0x0
                                        ; implicit-def: $vgpr22_vgpr23
	s_waitcnt lgkmcnt(0)
	v_or_b32_e32 v5, s25, v7
	v_cmp_ne_u64_e32 vcc, 0, v[4:5]
	s_and_saveexec_b64 s[2:3], vcc
	s_xor_b64 s[26:27], exec, s[2:3]
	s_cbranch_execz .LBB0_4
; %bb.3:                                ;   in Loop: Header=BB0_2 Depth=1
	v_cvt_f32_u32_e32 v5, s24
	v_cvt_f32_u32_e32 v8, s25
	s_sub_u32 s2, 0, s24
	s_subb_u32 s3, 0, s25
	v_fmac_f32_e32 v5, 0x4f800000, v8
	v_rcp_f32_e32 v5, v5
	s_nop 0
	v_mul_f32_e32 v5, 0x5f7ffffc, v5
	v_mul_f32_e32 v8, 0x2f800000, v5
	v_trunc_f32_e32 v8, v8
	v_fmac_f32_e32 v5, 0xcf800000, v8
	v_cvt_u32_f32_e32 v12, v8
	v_cvt_u32_f32_e32 v5, v5
	v_mul_lo_u32 v8, s2, v12
	v_mul_hi_u32 v10, s2, v5
	v_mul_lo_u32 v9, s3, v5
	v_add_u32_e32 v10, v10, v8
	v_mul_lo_u32 v13, s2, v5
	v_add_u32_e32 v14, v10, v9
	v_mul_hi_u32 v8, v5, v13
	v_mul_hi_u32 v11, v5, v14
	v_mul_lo_u32 v10, v5, v14
	v_mov_b32_e32 v9, v4
	v_lshl_add_u64 v[8:9], v[8:9], 0, v[10:11]
	v_mul_hi_u32 v11, v12, v13
	v_mul_lo_u32 v13, v12, v13
	v_add_co_u32_e32 v8, vcc, v8, v13
	v_mul_hi_u32 v10, v12, v14
	s_nop 0
	v_addc_co_u32_e32 v8, vcc, v9, v11, vcc
	v_mov_b32_e32 v9, v4
	s_nop 0
	v_addc_co_u32_e32 v11, vcc, 0, v10, vcc
	v_mul_lo_u32 v10, v12, v14
	v_lshl_add_u64 v[8:9], v[8:9], 0, v[10:11]
	v_add_co_u32_e32 v5, vcc, v5, v8
	v_mul_lo_u32 v10, s2, v5
	s_nop 0
	v_addc_co_u32_e32 v12, vcc, v12, v9, vcc
	v_mul_lo_u32 v8, s2, v12
	v_mul_hi_u32 v9, s2, v5
	v_add_u32_e32 v8, v9, v8
	v_mul_lo_u32 v9, s3, v5
	v_add_u32_e32 v13, v8, v9
	v_mul_hi_u32 v15, v12, v10
	v_mul_lo_u32 v16, v12, v10
	v_mul_hi_u32 v9, v5, v13
	v_mul_lo_u32 v8, v5, v13
	v_mul_hi_u32 v10, v5, v10
	v_mov_b32_e32 v11, v4
	v_lshl_add_u64 v[8:9], v[10:11], 0, v[8:9]
	v_add_co_u32_e32 v8, vcc, v8, v16
	v_mul_hi_u32 v14, v12, v13
	s_nop 0
	v_addc_co_u32_e32 v8, vcc, v9, v15, vcc
	v_mul_lo_u32 v10, v12, v13
	s_nop 0
	v_addc_co_u32_e32 v11, vcc, 0, v14, vcc
	v_mov_b32_e32 v9, v4
	v_lshl_add_u64 v[8:9], v[8:9], 0, v[10:11]
	v_add_co_u32_e32 v5, vcc, v5, v8
	v_mul_hi_u32 v10, v6, v5
	s_nop 0
	v_addc_co_u32_e32 v12, vcc, v12, v9, vcc
	v_mad_u64_u32 v[8:9], s[2:3], v6, v12, 0
	v_mov_b32_e32 v11, v4
	v_lshl_add_u64 v[8:9], v[10:11], 0, v[8:9]
	v_mad_u64_u32 v[10:11], s[2:3], v7, v12, 0
	v_mad_u64_u32 v[12:13], s[2:3], v7, v5, 0
	v_add_co_u32_e32 v5, vcc, v8, v12
	s_nop 1
	v_addc_co_u32_e32 v8, vcc, v9, v13, vcc
	v_mov_b32_e32 v9, v4
	s_nop 0
	v_addc_co_u32_e32 v11, vcc, 0, v11, vcc
	v_lshl_add_u64 v[8:9], v[8:9], 0, v[10:11]
	v_mul_lo_u32 v5, s25, v8
	v_mul_lo_u32 v12, s24, v9
	v_mad_u64_u32 v[10:11], s[2:3], s24, v8, 0
	v_add3_u32 v5, v11, v12, v5
	v_sub_u32_e32 v11, v7, v5
	v_mov_b32_e32 v12, s25
	v_sub_co_u32_e32 v14, vcc, v6, v10
	s_nop 1
	v_subb_co_u32_e64 v10, s[2:3], v11, v12, vcc
	v_subrev_co_u32_e64 v11, s[2:3], s24, v14
	v_subb_co_u32_e32 v5, vcc, v7, v5, vcc
	s_nop 0
	v_subbrev_co_u32_e64 v10, s[2:3], 0, v10, s[2:3]
	v_cmp_le_u32_e64 s[2:3], s25, v10
	v_cmp_le_u32_e32 vcc, s25, v5
	s_nop 0
	v_cndmask_b32_e64 v12, 0, -1, s[2:3]
	v_cmp_le_u32_e64 s[2:3], s24, v11
	s_nop 1
	v_cndmask_b32_e64 v11, 0, -1, s[2:3]
	v_cmp_eq_u32_e64 s[2:3], s25, v10
	s_nop 1
	v_cndmask_b32_e64 v15, v12, v11, s[2:3]
	v_lshl_add_u64 v[10:11], v[8:9], 0, 2
	v_lshl_add_u64 v[12:13], v[8:9], 0, 1
	v_cmp_ne_u32_e64 s[2:3], 0, v15
	s_nop 1
	v_cndmask_b32_e64 v11, v13, v11, s[2:3]
	v_cndmask_b32_e64 v13, 0, -1, vcc
	v_cmp_le_u32_e32 vcc, s24, v14
	s_nop 1
	v_cndmask_b32_e64 v14, 0, -1, vcc
	v_cmp_eq_u32_e32 vcc, s25, v5
	s_nop 1
	v_cndmask_b32_e32 v5, v13, v14, vcc
	v_cmp_ne_u32_e32 vcc, 0, v5
	v_cndmask_b32_e64 v5, v12, v10, s[2:3]
	s_nop 0
	v_cndmask_b32_e32 v23, v9, v11, vcc
	v_cndmask_b32_e32 v22, v8, v5, vcc
.LBB0_4:                                ;   in Loop: Header=BB0_2 Depth=1
	s_andn2_saveexec_b64 s[2:3], s[26:27]
	s_cbranch_execz .LBB0_6
; %bb.5:                                ;   in Loop: Header=BB0_2 Depth=1
	v_cvt_f32_u32_e32 v5, s24
	s_sub_i32 s26, 0, s24
	v_mov_b32_e32 v23, v4
	v_rcp_iflag_f32_e32 v5, v5
	s_nop 0
	v_mul_f32_e32 v5, 0x4f7ffffe, v5
	v_cvt_u32_f32_e32 v5, v5
	v_mul_lo_u32 v8, s26, v5
	v_mul_hi_u32 v8, v5, v8
	v_add_u32_e32 v5, v5, v8
	v_mul_hi_u32 v5, v6, v5
	v_mul_lo_u32 v8, v5, s24
	v_sub_u32_e32 v8, v6, v8
	v_add_u32_e32 v9, 1, v5
	v_subrev_u32_e32 v10, s24, v8
	v_cmp_le_u32_e32 vcc, s24, v8
	s_nop 1
	v_cndmask_b32_e32 v8, v8, v10, vcc
	v_cndmask_b32_e32 v5, v5, v9, vcc
	v_add_u32_e32 v9, 1, v5
	v_cmp_le_u32_e32 vcc, s24, v8
	s_nop 1
	v_cndmask_b32_e32 v22, v5, v9, vcc
.LBB0_6:                                ;   in Loop: Header=BB0_2 Depth=1
	s_or_b64 exec, exec, s[2:3]
	v_mad_u64_u32 v[8:9], s[2:3], v22, s24, 0
	s_load_dwordx2 s[2:3], s[18:19], 0x0
	v_mul_lo_u32 v5, v23, s24
	v_mul_lo_u32 v10, v22, s25
	s_load_dwordx2 s[24:25], s[16:17], 0x0
	s_add_u32 s22, s22, 1
	v_add3_u32 v5, v9, v10, v5
	v_sub_co_u32_e32 v6, vcc, v6, v8
	s_addc_u32 s23, s23, 0
	s_nop 0
	v_subb_co_u32_e32 v5, vcc, v7, v5, vcc
	s_add_u32 s16, s16, 8
	s_waitcnt lgkmcnt(0)
	v_mul_lo_u32 v7, s2, v5
	v_mul_lo_u32 v8, s3, v6
	v_mad_u64_u32 v[2:3], s[2:3], s2, v6, v[2:3]
	s_addc_u32 s17, s17, 0
	v_add3_u32 v3, v8, v3, v7
	v_mul_lo_u32 v5, s24, v5
	v_mul_lo_u32 v7, s25, v6
	v_mad_u64_u32 v[20:21], s[2:3], s24, v6, v[20:21]
	s_add_u32 s18, s18, 8
	v_add3_u32 v21, v7, v21, v5
	s_addc_u32 s19, s19, 0
	v_mov_b64_e32 v[6:7], s[10:11]
	s_add_u32 s20, s20, 8
	v_cmp_ge_u64_e32 vcc, s[22:23], v[6:7]
	s_addc_u32 s21, s21, 0
	s_cbranch_vccnz .LBB0_9
; %bb.7:                                ;   in Loop: Header=BB0_2 Depth=1
	v_mov_b64_e32 v[6:7], v[22:23]
	s_branch .LBB0_2
.LBB0_8:
	v_mov_b64_e32 v[20:21], v[2:3]
	v_mov_b64_e32 v[22:23], v[6:7]
.LBB0_9:
	s_load_dwordx2 s[2:3], s[0:1], 0x28
	s_lshl_b64 s[16:17], s[10:11], 3
	s_add_u32 s10, s14, s16
	v_and_b32_e32 v1, 1, v1
	s_addc_u32 s11, s15, s17
	v_cmp_eq_u32_e32 vcc, 1, v1
	v_mov_b32_e32 v1, 0x439
	s_waitcnt lgkmcnt(0)
	v_cmp_gt_u64_e64 s[0:1], s[2:3], v[22:23]
	v_cmp_le_u64_e64 s[2:3], s[2:3], v[22:23]
                                        ; implicit-def: $vgpr24
                                        ; implicit-def: $vgpr26
	s_and_saveexec_b64 s[14:15], s[2:3]
	s_xor_b64 s[2:3], exec, s[14:15]
; %bb.10:
	s_mov_b32 s14, 0x25ed098
	v_mul_hi_u32 v2, v0, s14
	v_mul_u32_u24_e32 v2, 0x6c, v2
	v_sub_u32_e32 v24, v0, v2
	v_add_u32_e32 v26, 0x6c, v24
                                        ; implicit-def: $vgpr0
                                        ; implicit-def: $vgpr2_vgpr3
; %bb.11:
	s_or_saveexec_b64 s[2:3], s[2:3]
	v_cndmask_b32_e32 v1, 0, v1, vcc
	v_lshlrev_b32_e32 v40, 3, v1
	s_xor_b64 exec, exec, s[2:3]
	s_cbranch_execz .LBB0_13
; %bb.12:
	s_add_u32 s12, s12, s16
	s_addc_u32 s13, s13, s17
	s_load_dwordx2 s[12:13], s[12:13], 0x0
	s_mov_b32 s14, 0x25ed098
	s_waitcnt lgkmcnt(0)
	v_mul_lo_u32 v1, s13, v22
	v_mul_lo_u32 v6, s12, v23
	v_mad_u64_u32 v[4:5], s[12:13], s12, v22, 0
	v_add3_u32 v5, v5, v6, v1
	v_mul_hi_u32 v1, v0, s14
	v_mul_u32_u24_e32 v1, 0x6c, v1
	v_sub_u32_e32 v24, v0, v1
	v_lshl_add_u64 v[0:1], v[4:5], 3, s[4:5]
	v_lshl_add_u64 v[0:1], v[2:3], 3, v[0:1]
	v_lshlrev_b32_e32 v2, 3, v24
	v_mov_b32_e32 v3, 0
	v_lshl_add_u64 v[0:1], v[0:1], 0, v[2:3]
	v_add_co_u32_e32 v12, vcc, 0x1000, v0
	global_load_dwordx2 v[4:5], v[0:1], off
	global_load_dwordx2 v[6:7], v[0:1], off offset:864
	global_load_dwordx2 v[8:9], v[0:1], off offset:1728
	;; [unrolled: 1-line block ×3, first 2 shown]
	v_addc_co_u32_e32 v13, vcc, 0, v1, vcc
	global_load_dwordx2 v[14:15], v[0:1], off offset:3456
	global_load_dwordx2 v[16:17], v[12:13], off offset:224
	;; [unrolled: 1-line block ×6, first 2 shown]
	v_add_u32_e32 v26, 0x6c, v24
	v_add3_u32 v0, 0, v40, v2
	v_add_u32_e32 v1, 0x400, v0
	v_add_u32_e32 v2, 0xc00, v0
	;; [unrolled: 1-line block ×4, first 2 shown]
	s_waitcnt vmcnt(8)
	ds_write2_b64 v0, v[4:5], v[6:7] offset1:108
	s_waitcnt vmcnt(6)
	ds_write2_b64 v1, v[8:9], v[10:11] offset0:88 offset1:196
	s_waitcnt vmcnt(4)
	ds_write2_b64 v2, v[14:15], v[16:17] offset0:48 offset1:156
	;; [unrolled: 2-line block ×4, first 2 shown]
.LBB0_13:
	s_or_b64 exec, exec, s[2:3]
	v_lshlrev_b32_e32 v25, 3, v24
	v_add_u32_e32 v41, 0, v25
	v_add_u32_e32 v27, v41, v40
	;; [unrolled: 1-line block ×8, first 2 shown]
	s_load_dwordx2 s[4:5], s[10:11], 0x0
	s_waitcnt lgkmcnt(0)
	s_barrier
	ds_read2_b64 v[0:3], v29 offset0:136 offset1:208
	ds_read_b64 v[30:31], v27 offset:8064
	ds_read2_b64 v[4:7], v4 offset0:32 offset1:104
	ds_read_b64 v[32:33], v39
	ds_read2_b64 v[12:15], v37 offset0:84 offset1:156
	ds_read2_b64 v[16:19], v36 offset0:60 offset1:132
	;; [unrolled: 1-line block ×3, first 2 shown]
	s_mov_b32 s2, 0x3f5db3d7
	s_waitcnt lgkmcnt(3)
	v_pk_add_f32 v[42:43], v[32:33], v[6:7]
	v_pk_add_f32 v[34:35], v[0:1], v[30:31]
	s_waitcnt lgkmcnt(1)
	v_pk_add_f32 v[44:45], v[14:15], v[18:19]
	s_mov_b32 s3, 0.5
	v_pk_add_f32 v[42:43], v[42:43], v[2:3]
	v_pk_add_f32 v[46:47], v[14:15], v[18:19] neg_lo:[0,1] neg_hi:[0,1]
	s_waitcnt lgkmcnt(0)
	v_fma_f32 v48, -0.5, v45, v11
	v_pk_add_f32 v[50:51], v[6:7], v[2:3]
	v_pk_add_f32 v[2:3], v[6:7], v[2:3] neg_lo:[0,1] neg_hi:[0,1]
	v_fma_f32 v28, -0.5, v34, v4
	v_fma_f32 v34, -0.5, v44, v10
	v_pk_add_f32 v[14:15], v[10:11], v[14:15]
	v_fmamk_f32 v10, v46, 0x3f5db3d7, v48
	v_pk_fma_f32 v[32:33], v[50:51], 0.5, v[32:33] op_sel_hi:[1,0,1] neg_lo:[1,0,0] neg_hi:[1,0,0]
	v_pk_mul_f32 v[2:3], v[2:3], s[2:3] op_sel_hi:[1,0]
	v_fmamk_f32 v44, v47, 0xbf5db3d7, v34
	v_pk_add_f32 v[50:51], v[32:33], v[2:3] op_sel:[0,1] op_sel_hi:[1,0] neg_lo:[0,1] neg_hi:[0,1]
	v_pk_add_f32 v[52:53], v[32:33], v[2:3] op_sel:[0,1] op_sel_hi:[1,0]
	s_mov_b32 s10, s3
	s_mov_b32 s11, s2
	v_pk_mul_f32 v[2:3], v[10:11], s[2:3] op_sel_hi:[0,1]
	v_pk_fma_f32 v[54:55], v[44:45], s[10:11], v[2:3] neg_lo:[0,0,1] neg_hi:[0,0,1]
	v_pk_fma_f32 v[2:3], v[44:45], s[10:11], v[2:3] op_sel_hi:[0,1,1]
	v_mad_u32_u24 v41, v24, 40, v41
	v_pk_add_f32 v[18:19], v[14:15], v[18:19]
	v_mov_b32_e32 v44, v50
	v_mov_b32_e32 v45, v53
	;; [unrolled: 1-line block ×3, first 2 shown]
	v_add_u32_e32 v56, v41, v40
	v_pk_add_f32 v[14:15], v[42:43], v[18:19]
	v_pk_add_f32 v[2:3], v[44:45], v[54:55]
	s_barrier
	ds_write2_b64 v56, v[14:15], v[2:3] offset1:1
	v_pk_add_f32 v[2:3], v[0:1], v[30:31] neg_lo:[0,1] neg_hi:[0,1]
	v_fma_f32 v10, -0.5, v35, v5
	v_fmamk_f32 v15, v3, 0xbf5db3d7, v28
	v_fmac_f32_e32 v28, 0x3f5db3d7, v3
	v_fmamk_f32 v14, v2, 0x3f5db3d7, v10
	v_fmac_f32_e32 v10, 0xbf5db3d7, v2
	v_pk_add_f32 v[2:3], v[12:13], v[16:17]
	v_pk_add_f32 v[6:7], v[12:13], v[16:17] neg_lo:[0,1] neg_hi:[0,1]
	v_pk_fma_f32 v[2:3], v[2:3], 0.5, v[8:9] op_sel_hi:[1,0,1] neg_lo:[1,0,0] neg_hi:[1,0,0]
	v_pk_mul_f32 v[6:7], v[6:7], s[2:3] op_sel_hi:[1,0]
	v_fmac_f32_e32 v48, 0xbf5db3d7, v46
	v_pk_add_f32 v[32:33], v[2:3], v[6:7] op_sel:[0,1] op_sel_hi:[1,0] neg_lo:[0,1] neg_hi:[0,1]
	v_pk_add_f32 v[6:7], v[6:7], v[2:3] op_sel:[1,0] op_sel_hi:[0,1]
	s_mov_b32 s10, -0.5
	v_pk_mul_f32 v[2:3], v[10:11], s[2:3] op_sel_hi:[0,1]
	v_fmac_f32_e32 v34, 0x3f5db3d7, v47
	v_pk_mul_f32 v[46:47], v[48:49], s[2:3] op_sel_hi:[0,1]
	v_pk_fma_f32 v[10:11], v[28:29], s[10:11], v[2:3] op_sel_hi:[0,1,1] neg_lo:[0,0,1] neg_hi:[0,0,1]
	v_mul_f32_e32 v3, 0xbf5db3d7, v14
	v_mul_f32_e32 v14, 0.5, v14
	v_pk_fma_f32 v[46:47], v[34:35], s[10:11], v[46:47] op_sel_hi:[0,1,1] neg_lo:[0,0,1] neg_hi:[0,0,1]
	v_mov_b32_e32 v53, v51
	v_fmac_f32_e32 v3, 0.5, v15
	v_fmac_f32_e32 v14, 0x3f5db3d7, v15
	v_mov_b32_e32 v34, v6
	v_mov_b32_e32 v35, v33
	v_pk_add_f32 v[48:49], v[52:53], v[46:47]
	v_pk_add_f32 v[18:19], v[42:43], v[18:19] neg_lo:[0,1] neg_hi:[0,1]
	s_movk_i32 s2, 0x48
	ds_write2_b64 v56, v[48:49], v[18:19] offset0:2 offset1:3
	v_sub_f32_e32 v2, v32, v3
	v_sub_f32_e32 v28, v7, v14
	v_pk_add_f32 v[42:43], v[44:45], v[54:55] neg_lo:[0,1] neg_hi:[0,1]
	v_pk_add_f32 v[18:19], v[34:35], v[10:11] neg_lo:[0,1] neg_hi:[0,1]
	;; [unrolled: 1-line block ×3, first 2 shown]
	v_cmp_gt_u32_e32 vcc, s2, v24
	ds_write2_b64 v56, v[42:43], v[44:45] offset0:4 offset1:5
	s_and_saveexec_b64 s[2:3], vcc
	s_cbranch_execz .LBB0_15
; %bb.14:
	v_pk_add_f32 v[0:1], v[4:5], v[0:1]
	v_mul_i32_i24_e32 v4, 6, v26
	v_lshlrev_b32_e32 v4, 3, v4
	v_add_f32_e32 v3, v32, v3
	v_add3_u32 v32, 0, v4, v40
	v_pk_add_f32 v[4:5], v[8:9], v[12:13]
	v_mov_b32_e32 v15, v10
	v_pk_add_f32 v[4:5], v[4:5], v[16:17]
	v_pk_add_f32 v[0:1], v[0:1], v[30:31]
	v_pk_add_f32 v[6:7], v[6:7], v[14:15] op_sel:[1,0] op_sel_hi:[0,1]
	v_sub_f32_e32 v12, v5, v1
	v_pk_add_f32 v[8:9], v[4:5], v[0:1]
	ds_write2_b32 v32, v6, v7 offset0:3 offset1:4
	v_mov_b32_e32 v6, v35
	v_mov_b32_e32 v7, v4
	;; [unrolled: 1-line block ×4, first 2 shown]
	v_pk_add_f32 v[0:1], v[6:7], v[4:5]
	v_pk_add_f32 v[4:5], v[6:7], v[4:5] neg_lo:[0,1] neg_hi:[0,1]
	ds_write_b64 v32, v[8:9]
	ds_write2_b32 v32, v0, v5 offset0:5 offset1:6
	ds_write2_b32 v32, v12, v2 offset0:7 offset1:8
	;; [unrolled: 1-line block ×3, first 2 shown]
	ds_write_b64 v32, v[18:19] offset:40
.LBB0_15:
	s_or_b64 exec, exec, s[2:3]
	s_movk_i32 s2, 0xab
	v_mul_lo_u16_sdwa v0, v24, s2 dst_sel:DWORD dst_unused:UNUSED_PAD src0_sel:BYTE_0 src1_sel:DWORD
	v_lshrrev_b16_e32 v3, 10, v0
	v_mul_lo_u16_e32 v0, 6, v3
	v_sub_u16_e32 v43, v24, v0
	v_mov_b32_e32 v0, 9
	v_mul_u32_u24_sdwa v0, v43, v0 dst_sel:DWORD dst_unused:UNUSED_PAD src0_sel:BYTE_0 src1_sel:DWORD
	v_lshlrev_b32_e32 v0, 3, v0
	s_waitcnt lgkmcnt(0)
	s_barrier
	global_load_dwordx4 v[6:9], v0, s[8:9]
	global_load_dwordx4 v[12:15], v0, s[8:9] offset:16
	global_load_dwordx4 v[44:47], v0, s[8:9] offset:32
	;; [unrolled: 1-line block ×3, first 2 shown]
	global_load_dwordx2 v[68:69], v0, s[8:9] offset:64
	v_lshlrev_b32_e32 v0, 3, v26
	ds_read2_b64 v[52:55], v37 offset0:48 offset1:156
	v_add3_u32 v42, 0, v0, v40
	v_add_u32_e32 v70, 0x400, v27
	ds_read_b64 v[4:5], v42
	ds_read2_b64 v[56:59], v70 offset0:88 offset1:196
	ds_read2_b64 v[60:63], v29 offset0:136 offset1:244
	;; [unrolled: 1-line block ×3, first 2 shown]
	ds_read_b64 v[0:1], v39
	s_movk_i32 s2, 0x1e0
	v_mad_u32_u24 v3, v3, s2, 0
	s_mov_b32 s2, 0x3e9e377a
	s_mov_b32 s3, 0x3f167918
	s_mov_b32 s12, 0x3f4f1bbd
	s_mov_b32 s14, s3
	s_mov_b32 s15, s12
	s_mov_b32 s13, s3
	s_mov_b32 s10, 0x3f737871
	s_mov_b32 s16, s2
	s_mov_b32 s17, s10
	s_waitcnt lgkmcnt(0)
	s_barrier
	s_waitcnt vmcnt(4)
	v_pk_mul_f32 v[10:11], v[6:7], v[4:5] op_sel:[0,1]
	v_pk_mul_f32 v[16:17], v[8:9], v[56:57] op_sel:[0,1]
	v_pk_fma_f32 v[34:35], v[6:7], v[4:5], v[10:11] op_sel:[0,0,1] op_sel_hi:[1,0,0]
	v_pk_fma_f32 v[10:11], v[6:7], v[4:5], v[10:11] op_sel:[0,0,1] op_sel_hi:[1,0,0] neg_lo:[1,0,0] neg_hi:[1,0,0]
	v_pk_fma_f32 v[6:7], v[8:9], v[56:57], v[16:17] op_sel:[0,0,1] op_sel_hi:[1,1,0]
	v_pk_fma_f32 v[36:37], v[8:9], v[56:57], v[16:17] op_sel:[0,0,1] op_sel_hi:[1,0,0] neg_lo:[1,0,0] neg_hi:[1,0,0]
	s_waitcnt vmcnt(3)
	v_pk_mul_f32 v[4:5], v[12:13], v[58:59] op_sel:[0,1]
	v_pk_mul_f32 v[8:9], v[14:15], v[52:53] op_sel:[0,1]
	v_pk_fma_f32 v[32:33], v[12:13], v[58:59], v[4:5] op_sel:[0,0,1] op_sel_hi:[1,0,0]
	v_pk_fma_f32 v[12:13], v[12:13], v[58:59], v[4:5] op_sel:[0,0,1] op_sel_hi:[1,0,0] neg_lo:[1,0,0] neg_hi:[1,0,0]
	v_pk_fma_f32 v[4:5], v[14:15], v[52:53], v[8:9] op_sel:[0,0,1] op_sel_hi:[1,1,0]
	v_pk_fma_f32 v[14:15], v[14:15], v[52:53], v[8:9] op_sel:[0,0,1] op_sel_hi:[1,0,0] neg_lo:[1,0,0] neg_hi:[1,0,0]
	s_waitcnt vmcnt(2)
	v_pk_mul_f32 v[8:9], v[44:45], v[54:55] op_sel:[0,1]
	v_mov_b32_e32 v10, v47
	v_pk_fma_f32 v[30:31], v[44:45], v[54:55], v[8:9] op_sel:[0,0,1] op_sel_hi:[1,0,0]
	v_pk_fma_f32 v[16:17], v[44:45], v[54:55], v[8:9] op_sel:[0,0,1] op_sel_hi:[1,0,0] neg_lo:[1,0,0] neg_hi:[1,0,0]
	v_mov_b32_e32 v8, v61
	v_pk_mul_f32 v[44:45], v[60:61], v[10:11]
	s_waitcnt vmcnt(1)
	v_mov_b32_e32 v12, v49
	v_pk_fma_f32 v[44:45], v[8:9], v[46:47], v[44:45] neg_lo:[0,0,1] neg_hi:[0,0,1]
	v_pk_mul_f32 v[8:9], v[60:61], v[46:47]
	v_mov_b32_e32 v10, v63
	v_mov_b32_e32 v8, v9
	v_pk_fma_f32 v[8:9], v[60:61], v[46:47], v[8:9]
	v_pk_mul_f32 v[46:47], v[62:63], v[12:13]
	v_pk_mul_f32 v[52:53], v[62:63], v[48:49]
	s_waitcnt vmcnt(0)
	v_pk_mul_f32 v[56:57], v[66:67], v[68:69]
	v_mov_b32_e32 v58, v52
	v_mov_b32_e32 v59, v56
	;; [unrolled: 1-line block ×4, first 2 shown]
	v_pk_fma_f32 v[46:47], v[10:11], v[48:49], v[46:47] neg_lo:[0,0,1] neg_hi:[0,0,1]
	v_mov_b32_e32 v10, v51
	v_mov_b32_e32 v12, v69
	v_lshlrev_b32_sdwa v5, v5, v43 dst_sel:DWORD dst_unused:UNUSED_PAD src0_sel:DWORD src1_sel:BYTE_0
	v_pk_mul_f32 v[48:49], v[64:65], v[10:11] op_sel_hi:[1,0]
	v_pk_add_f32 v[52:53], v[58:59], v[56:57]
	v_pk_mul_f32 v[54:55], v[66:67], v[12:13]
	v_mov_b32_e32 v12, v67
	v_add3_u32 v3, v3, v5, v40
	v_mov_b32_e32 v7, v37
	v_mov_b32_e32 v5, v15
	v_pk_fma_f32 v[36:37], v[64:65], v[50:51], v[48:49] op_sel:[0,0,1] op_sel_hi:[1,1,0]
	v_pk_fma_f32 v[14:15], v[64:65], v[50:51], v[48:49] op_sel:[0,0,1] op_sel_hi:[1,0,0] neg_lo:[0,0,1] neg_hi:[0,0,1]
	v_mov_b32_e32 v48, v32
	v_mov_b32_e32 v50, v30
	;; [unrolled: 1-line block ×4, first 2 shown]
	v_pk_fma_f32 v[54:55], v[12:13], v[68:69], v[54:55] neg_lo:[0,0,1] neg_hi:[0,0,1]
	v_mov_b32_e32 v10, v13
	v_pk_add_f32 v[58:59], v[48:49], v[50:51] neg_lo:[0,1] neg_hi:[0,1]
	v_mov_b32_e32 v12, v17
	v_mov_b32_e32 v9, v44
	v_pk_add_f32 v[44:45], v[10:11], v[54:55] neg_lo:[0,1] neg_hi:[0,1]
	v_mov_b32_e32 v10, v59
	v_add_f32_e32 v16, v30, v52
	v_pk_add_f32 v[56:57], v[12:13], v[46:47] neg_lo:[0,1] neg_hi:[0,1]
	v_pk_add_f32 v[58:59], v[58:59], v[10:11]
	v_fma_f32 v16, -0.5, v16, v34
	v_mov_b32_e32 v59, v56
	v_fmamk_f32 v12, v44, 0xbf737871, v16
	v_pk_mul_f32 v[58:59], v[58:59], s[2:3]
	v_fmac_f32_e32 v16, 0x3f737871, v44
	v_sub_f32_e32 v10, v12, v59
	v_add_f32_e32 v12, v58, v10
	v_add_f32_e32 v10, v59, v16
	v_add_f32_e32 v16, v32, v53
	v_mov_b32_e32 v43, v34
	v_pk_add_f32 v[48:49], v[50:51], v[48:49] neg_lo:[0,1] neg_hi:[0,1]
	v_mov_b32_e32 v35, v11
	v_mov_b32_e32 v33, v13
	v_fmac_f32_e32 v43, -0.5, v16
	v_mov_b32_e32 v16, v49
	v_mov_b32_e32 v31, v17
	v_pk_add_f32 v[48:49], v[48:49], v[16:17]
	v_pk_add_f32 v[34:35], v[34:35], v[32:33]
	v_mov_b32_e32 v49, v44
	v_pk_add_f32 v[34:35], v[34:35], v[30:31]
	v_mov_b32_e32 v44, v52
	v_mov_b32_e32 v45, v46
	v_pk_add_f32 v[34:35], v[34:35], v[44:45]
	v_mov_b32_e32 v44, v53
	v_mov_b32_e32 v45, v54
	v_fmamk_f32 v47, v56, 0x3f737871, v43
	v_fmac_f32_e32 v43, 0xbf737871, v56
	v_pk_add_f32 v[34:35], v[34:35], v[44:45]
	v_pk_mul_f32 v[44:45], v[48:49], s[2:3]
	v_mov_b32_e32 v16, v53
	v_sub_f32_e32 v47, v47, v45
	v_add_f32_e32 v43, v45, v43
	v_add_f32_e32 v48, v44, v47
	;; [unrolled: 1-line block ×4, first 2 shown]
	v_pk_add_f32 v[32:33], v[32:33], v[16:17] neg_lo:[0,1] neg_hi:[0,1]
	v_pk_add_f32 v[30:31], v[30:31], v[52:53] neg_lo:[0,1] neg_hi:[0,1]
	v_mov_b32_e32 v52, v13
	v_mov_b32_e32 v53, v54
	;; [unrolled: 1-line block ×4, first 2 shown]
	v_pk_add_f32 v[46:47], v[52:53], v[16:17] neg_lo:[0,1] neg_hi:[0,1]
	v_pk_add_f32 v[16:17], v[16:17], v[52:53] neg_lo:[0,1] neg_hi:[0,1]
	v_mov_b32_e32 v56, v47
	v_pk_add_f32 v[46:47], v[46:47], v[56:57]
	v_fma_f32 v43, -0.5, v43, v11
	v_mov_b32_e32 v47, v30
	v_mov_b32_e32 v52, v17
	v_fmamk_f32 v31, v32, 0x3f737871, v43
	v_pk_mul_f32 v[46:47], v[46:47], s[2:3]
	v_add_f32_e32 v13, v13, v54
	v_pk_add_f32 v[16:17], v[16:17], v[52:53]
	v_add_f32_e32 v31, v47, v31
	v_fmac_f32_e32 v11, -0.5, v13
	v_mov_b32_e32 v17, v32
	v_mov_b32_e32 v37, v15
	v_pk_add_f32 v[14:15], v[0:1], v[6:7]
	v_add_f32_e32 v56, v46, v31
	v_fmamk_f32 v13, v30, 0xbf737871, v11
	v_pk_mul_f32 v[16:17], v[16:17], s[2:3]
	v_pk_add_f32 v[14:15], v[14:15], v[4:5]
	v_add_f32_e32 v13, v17, v13
	v_pk_mul_f32 v[52:53], v[56:57], s[14:15] op_sel_hi:[0,1]
	v_pk_add_f32 v[14:15], v[14:15], v[8:9]
	v_add_f32_e32 v10, v58, v10
	v_pk_add_f32 v[58:59], v[6:7], v[4:5] neg_lo:[0,1] neg_hi:[0,1]
	v_pk_add_f32 v[50:51], v[36:37], v[8:9] neg_lo:[0,1] neg_hi:[0,1]
	v_fmac_f32_e32 v43, 0xbf737871, v32
	v_add_f32_e32 v32, v16, v13
	v_fmac_f32_e32 v11, 0x3f737871, v30
	v_pk_fma_f32 v[54:55], v[12:13], s[12:13], v[52:53] neg_lo:[0,0,1] neg_hi:[0,0,1]
	v_pk_fma_f32 v[12:13], v[12:13], s[12:13], v[52:53] op_sel_hi:[0,1,1]
	v_pk_add_f32 v[52:53], v[4:5], v[8:9] neg_lo:[0,1] neg_hi:[0,1]
	v_pk_add_f32 v[56:57], v[6:7], v[36:37]
	v_pk_add_f32 v[14:15], v[14:15], v[36:37]
	v_sub_f32_e32 v11, v11, v17
	v_pk_add_f32 v[50:51], v[58:59], v[50:51]
	v_mov_b32_e32 v55, v13
	v_pk_add_f32 v[12:13], v[6:7], v[36:37] neg_lo:[0,1] neg_hi:[0,1]
	v_pk_fma_f32 v[56:57], v[56:57], 0.5, v[0:1] op_sel_hi:[1,0,1] neg_lo:[1,0,0] neg_hi:[1,0,0]
	v_pk_mul_f32 v[58:59], v[52:53], s[10:11] op_sel_hi:[1,0]
	s_mov_b32 s12, s3
	v_pk_add_f32 v[6:7], v[4:5], v[6:7] neg_lo:[0,1] neg_hi:[0,1]
	v_pk_add_f32 v[36:37], v[8:9], v[36:37] neg_lo:[0,1] neg_hi:[0,1]
	s_mov_b32 s11, s2
	v_sub_f32_e32 v31, v43, v47
	v_add_f32_e32 v16, v16, v11
	v_pk_mul_f32 v[60:61], v[12:13], s[12:13] op_sel_hi:[1,0]
	v_pk_add_f32 v[6:7], v[6:7], v[36:37]
	v_pk_add_f32 v[36:37], v[56:57], v[58:59] op_sel:[0,1] op_sel_hi:[1,0]
	v_pk_add_f32 v[56:57], v[56:57], v[58:59] op_sel:[0,1] op_sel_hi:[1,0] neg_lo:[0,1] neg_hi:[0,1]
	v_pk_mul_f32 v[32:33], v[32:33], s[10:11] op_sel_hi:[0,1]
	v_add_f32_e32 v46, v46, v31
	v_pk_add_f32 v[56:57], v[56:57], v[60:61] op_sel:[0,1] op_sel_hi:[1,0]
	v_pk_add_f32 v[36:37], v[36:37], v[60:61] op_sel:[0,1] op_sel_hi:[1,0] neg_lo:[0,1] neg_hi:[0,1]
	v_pk_fma_f32 v[60:61], v[48:49], s[16:17], v[32:33] neg_lo:[0,0,1] neg_hi:[0,0,1]
	v_pk_fma_f32 v[32:33], v[48:49], s[16:17], v[32:33] op_sel_hi:[0,1,1]
	v_pk_mul_f32 v[48:49], v[52:53], s[12:13] op_sel_hi:[1,0]
	s_mov_b32 s12, 0xbe9e377a
	s_mov_b32 s13, s10
	v_pk_mul_f32 v[16:17], v[16:17], s[10:11] op_sel_hi:[0,1]
	v_pk_add_f32 v[4:5], v[4:5], v[8:9]
	v_pk_fma_f32 v[16:17], v[44:45], s[12:13], v[16:17] op_sel_hi:[0,1,1] neg_lo:[0,0,1] neg_hi:[0,0,1]
	v_pk_fma_f32 v[0:1], v[4:5], 0.5, v[0:1] op_sel_hi:[1,0,1] neg_lo:[1,0,0] neg_hi:[1,0,0]
	s_mov_b32 s12, 0xbf4f1bbd
	s_mov_b32 s13, s3
	v_pk_mul_f32 v[4:5], v[46:47], s[14:15] op_sel_hi:[0,1]
	v_pk_mul_f32 v[8:9], v[12:13], s[10:11] op_sel_hi:[1,0]
	v_pk_fma_f32 v[4:5], v[10:11], s[12:13], v[4:5] op_sel_hi:[0,1,1] neg_lo:[0,0,1] neg_hi:[0,0,1]
	v_pk_add_f32 v[10:11], v[0:1], v[8:9] op_sel:[0,1] op_sel_hi:[1,0] neg_lo:[0,1] neg_hi:[0,1]
	v_pk_add_f32 v[0:1], v[0:1], v[8:9] op_sel:[0,1] op_sel_hi:[1,0]
	v_mov_b32_e32 v58, v36
	v_mov_b32_e32 v59, v57
	v_mov_b32_e32 v57, v37
	v_pk_add_f32 v[0:1], v[0:1], v[48:49] op_sel:[0,1] op_sel_hi:[1,0]
	v_pk_add_f32 v[8:9], v[10:11], v[48:49] op_sel:[0,1] op_sel_hi:[1,0] neg_lo:[0,1] neg_hi:[0,1]
	v_pk_fma_f32 v[58:59], v[6:7], s[2:3], v[58:59] op_sel_hi:[1,0,1]
	v_mov_b32_e32 v61, v33
	v_pk_fma_f32 v[6:7], v[6:7], s[2:3], v[56:57] op_sel_hi:[1,0,1]
	v_mov_b32_e32 v10, v8
	v_mov_b32_e32 v11, v1
	v_pk_add_f32 v[32:33], v[58:59], v[60:61]
	v_pk_add_f32 v[36:37], v[6:7], v[16:17]
	v_pk_fma_f32 v[10:11], v[50:51], s[2:3], v[10:11] op_sel_hi:[1,0,1]
	v_mov_b32_e32 v1, v9
	v_pk_add_f32 v[30:31], v[14:15], v[34:35]
	ds_write2_b64 v3, v[32:33], v[36:37] offset0:12 offset1:18
	v_pk_fma_f32 v[0:1], v[50:51], s[2:3], v[0:1] op_sel_hi:[1,0,1]
	v_pk_add_f32 v[32:33], v[10:11], v[54:55] neg_lo:[0,1] neg_hi:[0,1]
	v_pk_add_f32 v[10:11], v[10:11], v[54:55]
	v_pk_add_f32 v[8:9], v[0:1], v[4:5]
	ds_write2_b64 v3, v[30:31], v[10:11] offset1:6
	v_pk_add_f32 v[10:11], v[14:15], v[34:35] neg_lo:[0,1] neg_hi:[0,1]
	ds_write2_b64 v3, v[8:9], v[10:11] offset0:24 offset1:30
	v_pk_add_f32 v[8:9], v[58:59], v[60:61] neg_lo:[0,1] neg_hi:[0,1]
	v_pk_add_f32 v[10:11], v[6:7], v[16:17] neg_lo:[0,1] neg_hi:[0,1]
	;; [unrolled: 1-line block ×3, first 2 shown]
	ds_write2_b64 v3, v[32:33], v[8:9] offset0:36 offset1:42
	ds_write2_b64 v3, v[10:11], v[0:1] offset0:48 offset1:54
	s_waitcnt lgkmcnt(0)
	s_barrier
	ds_read2_b64 v[12:15], v70 offset0:52 offset1:232
	ds_read2_b64 v[4:7], v29 offset0:28 offset1:208
	ds_read_b64 v[16:17], v39
	ds_read_b64 v[30:31], v27 offset:7200
	s_and_saveexec_b64 s[2:3], vcc
	s_cbranch_execz .LBB0_17
; %bb.16:
	v_add_u32_e32 v0, 0x800, v27
	ds_read2_b64 v[8:11], v0 offset0:32 offset1:212
	v_add_u32_e32 v0, 0x1400, v27
	ds_read2_b64 v[0:3], v0 offset0:8 offset1:188
	ds_read_b64 v[32:33], v42
	ds_read_b64 v[18:19], v27 offset:8064
	s_waitcnt lgkmcnt(2)
	v_mov_b32_e32 v28, v3
.LBB0_17:
	s_or_b64 exec, exec, s[2:3]
	v_subrev_u32_e32 v3, 60, v24
	v_cmp_gt_u32_e64 s[2:3], 60, v24
	v_mov_b32_e32 v35, 0
	v_mov_b32_e32 v66, v1
	v_cndmask_b32_e64 v3, v3, v24, s[2:3]
	s_movk_i32 s2, 0x89
	v_mul_i32_i24_e32 v34, 5, v3
	v_mul_lo_u16_sdwa v29, v26, s2 dst_sel:DWORD dst_unused:UNUSED_PAD src0_sel:BYTE_0 src1_sel:DWORD
	v_lshl_add_u64 v[36:37], v[34:35], 3, s[8:9]
	v_lshrrev_b16_e32 v34, 13, v29
	v_mul_lo_u16_e32 v29, 60, v34
	v_sub_u16_e32 v35, v26, v29
	v_mov_b32_e32 v29, 5
	v_mul_u32_u24_sdwa v29, v35, v29 dst_sel:DWORD dst_unused:UNUSED_PAD src0_sel:BYTE_0 src1_sel:DWORD
	global_load_dwordx4 v[44:47], v[36:37], off offset:432
	global_load_dwordx4 v[48:51], v[36:37], off offset:448
	v_lshlrev_b32_e32 v29, 3, v29
	global_load_dwordx4 v[52:55], v29, s[8:9] offset:432
	global_load_dwordx4 v[56:59], v29, s[8:9] offset:448
	global_load_dwordx2 v[60:61], v29, s[8:9] offset:464
	v_mov_b32_e32 v1, 0xb40
	global_load_dwordx2 v[36:37], v[36:37], off offset:464
	v_cmp_lt_u32_e64 s[2:3], 59, v24
	v_mov_b32_e32 v62, v9
	v_mov_b32_e32 v64, v11
	v_cndmask_b32_e64 v1, 0, v1, s[2:3]
	v_add_u32_e32 v1, 0, v1
	v_lshlrev_b32_e32 v3, 3, v3
	v_add3_u32 v43, v1, v3, v40
	s_mov_b32 s12, 0x3f5db3d7
	s_mov_b32 s13, 0.5
	s_mov_b32 s2, s13
	s_mov_b32 s3, s12
	s_waitcnt lgkmcnt(0)
	s_barrier
	s_mov_b32 s10, -0.5
	s_mov_b32 s11, s12
	s_movk_i32 s14, 0xb40
	s_waitcnt vmcnt(5)
	v_pk_mul_f32 v[68:69], v[44:45], v[12:13] op_sel:[0,1]
	v_pk_mul_f32 v[70:71], v[46:47], v[14:15] op_sel:[0,1]
	v_pk_fma_f32 v[72:73], v[44:45], v[12:13], v[68:69] op_sel:[0,0,1] op_sel_hi:[1,0,0]
	v_pk_fma_f32 v[44:45], v[44:45], v[12:13], v[68:69] op_sel:[0,0,1] op_sel_hi:[1,0,0] neg_lo:[1,0,0] neg_hi:[1,0,0]
	v_pk_fma_f32 v[68:69], v[46:47], v[14:15], v[70:71] op_sel:[0,0,1] op_sel_hi:[1,1,0]
	v_pk_fma_f32 v[12:13], v[46:47], v[14:15], v[70:71] op_sel:[0,0,1] op_sel_hi:[1,0,0] neg_lo:[1,0,0] neg_hi:[1,0,0]
	s_waitcnt vmcnt(4)
	v_pk_mul_f32 v[14:15], v[48:49], v[4:5] op_sel:[0,1]
	v_mov_b32_e32 v69, v13
	v_pk_fma_f32 v[46:47], v[48:49], v[4:5], v[14:15] op_sel:[0,0,1] op_sel_hi:[1,1,0]
	v_pk_fma_f32 v[48:49], v[48:49], v[4:5], v[14:15] op_sel:[0,0,1] op_sel_hi:[1,0,0] neg_lo:[1,0,0] neg_hi:[1,0,0]
	s_waitcnt vmcnt(3)
	v_pk_mul_f32 v[4:5], v[62:63], v[52:53] op_sel_hi:[0,1]
	v_pk_mul_f32 v[12:13], v[64:65], v[54:55] op_sel_hi:[0,1]
	s_waitcnt vmcnt(2)
	v_pk_mul_f32 v[14:15], v[66:67], v[56:57] op_sel_hi:[0,1]
	s_waitcnt vmcnt(1)
	v_pk_mul_f32 v[62:63], v[18:19], v[60:61] op_sel:[1,0]
	v_pk_mul_f32 v[28:29], v[28:29], v[58:59] op_sel_hi:[0,1]
	v_pk_fma_f32 v[64:65], v[8:9], v[52:53], v[4:5] op_sel:[0,0,1] op_sel_hi:[0,1,0]
	v_pk_fma_f32 v[52:53], v[8:9], v[52:53], v[4:5] op_sel:[0,0,1] op_sel_hi:[0,1,0] neg_lo:[1,0,0] neg_hi:[1,0,0]
	v_pk_fma_f32 v[4:5], v[10:11], v[54:55], v[12:13] op_sel:[0,0,1] op_sel_hi:[1,1,0]
	v_pk_fma_f32 v[8:9], v[10:11], v[54:55], v[12:13] op_sel:[0,0,1] op_sel_hi:[0,1,0] neg_lo:[1,0,0] neg_hi:[1,0,0]
	;; [unrolled: 2-line block ×5, first 2 shown]
	v_mov_b32_e32 v11, v1
	v_mov_b32_e32 v15, v19
	;; [unrolled: 1-line block ×5, first 2 shown]
	v_pk_add_f32 v[8:9], v[10:11], v[14:15]
	v_mov_b32_e32 v18, v64
	v_pk_add_f32 v[0:1], v[32:33], v[4:5]
	v_pk_add_f32 v[28:29], v[10:11], v[14:15] neg_lo:[0,1] neg_hi:[0,1]
	v_pk_add_f32 v[2:3], v[64:65], v[10:11]
	v_pk_add_f32 v[10:11], v[4:5], v[12:13]
	v_pk_add_f32 v[4:5], v[4:5], v[12:13] neg_lo:[0,1] neg_hi:[0,1]
	v_fmac_f32_e32 v53, -0.5, v9
	v_fmac_f32_e32 v18, -0.5, v8
	v_pk_add_f32 v[2:3], v[2:3], v[14:15]
	v_pk_fma_f32 v[10:11], v[10:11], 0.5, v[32:33] op_sel_hi:[1,0,1] neg_lo:[1,0,0] neg_hi:[1,0,0]
	v_pk_mul_f32 v[4:5], v[4:5], s[12:13] op_sel_hi:[1,0]
	v_fmamk_f32 v15, v28, 0x3f5db3d7, v53
	v_fmac_f32_e32 v53, 0xbf5db3d7, v28
	v_mov_b32_e32 v47, v49
	v_pk_mul_f32 v[48:49], v[50:51], v[6:7] op_sel:[0,1]
	v_fmamk_f32 v14, v29, 0xbf5db3d7, v18
	v_fmac_f32_e32 v18, 0x3f5db3d7, v29
	v_pk_add_f32 v[8:9], v[10:11], v[4:5] op_sel:[0,1] op_sel_hi:[1,0] neg_lo:[0,1] neg_hi:[0,1]
	v_pk_add_f32 v[28:29], v[4:5], v[10:11] op_sel:[1,0] op_sel_hi:[0,1]
	v_mov_b32_e32 v10, v53
	v_pk_fma_f32 v[52:53], v[50:51], v[6:7], v[48:49] op_sel:[0,0,1] op_sel_hi:[1,1,0]
	v_pk_fma_f32 v[6:7], v[50:51], v[6:7], v[48:49] op_sel:[0,0,1] op_sel_hi:[1,0,0] neg_lo:[1,0,0] neg_hi:[1,0,0]
	v_mov_b32_e32 v73, v45
	v_mov_b32_e32 v53, v7
	s_waitcnt vmcnt(0)
	v_pk_mul_f32 v[6:7], v[36:37], v[30:31] op_sel:[0,1]
	v_mov_b32_e32 v4, v28
	v_pk_fma_f32 v[48:49], v[36:37], v[30:31], v[6:7] op_sel:[0,0,1] op_sel_hi:[1,1,0]
	v_pk_fma_f32 v[6:7], v[36:37], v[30:31], v[6:7] op_sel:[0,0,1] op_sel_hi:[1,0,0] neg_lo:[1,0,0] neg_hi:[1,0,0]
	v_mov_b32_e32 v28, v72
	v_mov_b32_e32 v49, v7
	v_pk_add_f32 v[30:31], v[46:47], v[48:49]
	v_pk_add_f32 v[36:37], v[46:47], v[48:49] neg_lo:[0,1] neg_hi:[0,1]
	v_pk_add_f32 v[46:47], v[72:73], v[46:47]
	v_fmac_f32_e32 v45, -0.5, v31
	v_pk_add_f32 v[46:47], v[46:47], v[48:49]
	v_pk_add_f32 v[48:49], v[68:69], v[52:53]
	;; [unrolled: 1-line block ×3, first 2 shown]
	v_fmac_f32_e32 v28, -0.5, v30
	v_fmamk_f32 v44, v36, 0x3f5db3d7, v45
	v_fmac_f32_e32 v45, 0xbf5db3d7, v36
	v_pk_fma_f32 v[16:17], v[48:49], 0.5, v[16:17] op_sel_hi:[1,0,1] neg_lo:[1,0,0] neg_hi:[1,0,0]
	v_pk_add_f32 v[48:49], v[68:69], v[52:53] neg_lo:[0,1] neg_hi:[0,1]
	v_pk_add_f32 v[6:7], v[6:7], v[52:53]
	v_fmamk_f32 v30, v37, 0xbf5db3d7, v28
	v_pk_mul_f32 v[48:49], v[48:49], s[12:13] op_sel_hi:[1,0]
	v_pk_mul_f32 v[52:53], v[44:45], s[12:13] op_sel_hi:[0,1]
	v_pk_add_f32 v[50:51], v[16:17], v[48:49] op_sel:[0,1] op_sel_hi:[1,0] neg_lo:[0,1] neg_hi:[0,1]
	v_pk_add_f32 v[16:17], v[16:17], v[48:49] op_sel:[0,1] op_sel_hi:[1,0]
	v_pk_fma_f32 v[54:55], v[30:31], s[2:3], v[52:53] neg_lo:[0,0,1] neg_hi:[0,0,1]
	v_pk_fma_f32 v[30:31], v[30:31], s[2:3], v[52:53] op_sel_hi:[0,1,1]
	v_mov_b32_e32 v48, v50
	v_mov_b32_e32 v49, v17
	;; [unrolled: 1-line block ×3, first 2 shown]
	v_fmac_f32_e32 v28, 0x3f5db3d7, v37
	v_pk_add_f32 v[36:37], v[6:7], v[46:47]
	v_pk_add_f32 v[30:31], v[48:49], v[54:55]
	ds_write2_b64 v43, v[36:37], v[30:31] offset1:60
	v_mov_b32_e32 v30, v45
	v_pk_mul_f32 v[30:31], v[30:31], s[12:13] op_sel_hi:[0,1]
	v_mul_f32_e32 v32, 0xbf5db3d7, v15
	v_mul_f32_e32 v33, 0.5, v15
	v_pk_mul_f32 v[10:11], v[10:11], s[12:13] op_sel_hi:[0,1]
	v_pk_fma_f32 v[30:31], v[28:29], s[10:11], v[30:31] op_sel_hi:[0,1,1] neg_lo:[0,0,1] neg_hi:[0,0,1]
	v_mov_b32_e32 v17, v51
	v_pk_add_f32 v[0:1], v[0:1], v[12:13]
	v_mov_b32_e32 v5, v9
	v_fmac_f32_e32 v32, 0.5, v14
	v_fmac_f32_e32 v33, 0x3f5db3d7, v14
	v_pk_fma_f32 v[10:11], v[18:19], s[10:11], v[10:11] op_sel_hi:[0,1,1] neg_lo:[0,0,1] neg_hi:[0,0,1]
	v_pk_add_f32 v[36:37], v[16:17], v[30:31]
	v_pk_add_f32 v[6:7], v[6:7], v[46:47] neg_lo:[0,1] neg_hi:[0,1]
	v_pk_add_f32 v[12:13], v[0:1], v[2:3] neg_lo:[0,1] neg_hi:[0,1]
	v_sub_f32_e32 v14, v8, v32
	v_sub_f32_e32 v15, v29, v33
	v_pk_add_f32 v[18:19], v[4:5], v[10:11] neg_lo:[0,1] neg_hi:[0,1]
	ds_write2_b64 v43, v[36:37], v[6:7] offset0:120 offset1:180
	v_pk_add_f32 v[6:7], v[48:49], v[54:55] neg_lo:[0,1] neg_hi:[0,1]
	v_pk_add_f32 v[16:17], v[16:17], v[30:31] neg_lo:[0,1] neg_hi:[0,1]
	v_add_u32_e32 v9, 0x400, v43
	ds_write2_b64 v9, v[6:7], v[16:17] offset0:112 offset1:172
	s_and_saveexec_b64 s[2:3], vcc
	s_cbranch_execz .LBB0_19
; %bb.18:
	v_mov_b32_e32 v9, 3
	v_add_f32_e32 v6, v8, v32
	v_mad_u32_u24 v8, v34, s14, 0
	v_lshlrev_b32_sdwa v9, v9, v35 dst_sel:DWORD dst_unused:UNUSED_PAD src0_sel:DWORD src1_sel:BYTE_0
	v_add_f32_e32 v7, v29, v33
	v_add3_u32 v8, v8, v9, v40
	v_pk_add_f32 v[0:1], v[0:1], v[2:3]
	ds_write2_b64 v8, v[0:1], v[6:7] offset1:60
	v_pk_add_f32 v[0:1], v[4:5], v[10:11]
	ds_write2_b64 v8, v[0:1], v[12:13] offset0:120 offset1:180
	v_add_u32_e32 v0, 0x400, v8
	ds_write2_b64 v0, v[14:15], v[18:19] offset0:112 offset1:172
.LBB0_19:
	s_or_b64 exec, exec, s[2:3]
	v_add_u32_e32 v0, 0x400, v27
	v_add_u32_e32 v4, 0x1400, v27
	;; [unrolled: 1-line block ×3, first 2 shown]
	s_waitcnt lgkmcnt(0)
	s_barrier
	ds_read_b64 v[30:31], v39
	ds_read2_b64 v[0:3], v0 offset0:88 offset1:232
	ds_read2_b64 v[4:7], v4 offset0:80 offset1:188
	;; [unrolled: 1-line block ×3, first 2 shown]
	ds_read_b64 v[28:29], v42
	ds_read_b64 v[32:33], v27 offset:7488
	v_mul_i32_i24_e32 v34, 0xffffffd8, v24
	v_cmp_gt_u32_e32 vcc, 36, v24
	s_and_saveexec_b64 s[2:3], vcc
	s_cbranch_execz .LBB0_21
; %bb.20:
	ds_read_b64 v[12:13], v27 offset:2592
	ds_read_b64 v[14:15], v27 offset:5472
	;; [unrolled: 1-line block ×3, first 2 shown]
.LBB0_21:
	s_or_b64 exec, exec, s[2:3]
	v_lshlrev_b32_e32 v16, 1, v24
	v_mov_b32_e32 v17, 0
	v_lshl_add_u64 v[36:37], v[16:17], 3, s[8:9]
	v_add_u32_e32 v16, 0x1b0, v16
	v_lshl_add_u64 v[48:49], v[16:17], 3, s[8:9]
	global_load_dwordx4 v[44:47], v[36:37], off offset:2832
	v_add3_u32 v16, v41, v34, v40
	global_load_dwordx4 v[48:51], v[48:49], off offset:2832
	v_lshlrev_b32_e32 v36, 1, v26
	v_mov_b32_e32 v37, v17
	v_lshl_add_u64 v[36:37], v[36:37], 3, s[8:9]
	global_load_dwordx4 v[52:55], v[36:37], off offset:2832
	s_mov_b32 s2, 0x3f5db3d7
	s_waitcnt lgkmcnt(0)
	s_barrier
	s_waitcnt vmcnt(2)
	v_pk_mul_f32 v[34:35], v[44:45], v[2:3] op_sel:[0,1]
	v_pk_mul_f32 v[36:37], v[46:47], v[4:5] op_sel:[0,1]
	v_pk_fma_f32 v[40:41], v[44:45], v[2:3], v[34:35] op_sel:[0,0,1] op_sel_hi:[1,1,0]
	v_pk_fma_f32 v[2:3], v[44:45], v[2:3], v[34:35] op_sel:[0,0,1] op_sel_hi:[1,0,0] neg_lo:[1,0,0] neg_hi:[1,0,0]
	v_pk_fma_f32 v[34:35], v[46:47], v[4:5], v[36:37] op_sel:[0,0,1] op_sel_hi:[1,1,0]
	v_pk_fma_f32 v[4:5], v[46:47], v[4:5], v[36:37] op_sel:[0,0,1] op_sel_hi:[1,0,0] neg_lo:[1,0,0] neg_hi:[1,0,0]
	s_waitcnt vmcnt(1)
	v_pk_mul_f32 v[36:37], v[48:49], v[10:11] op_sel:[0,1]
	v_pk_mul_f32 v[44:45], v[50:51], v[32:33] op_sel:[0,1]
	s_waitcnt vmcnt(0)
	v_pk_mul_f32 v[46:47], v[52:53], v[8:9] op_sel:[0,1]
	v_pk_mul_f32 v[56:57], v[54:55], v[6:7] op_sel:[0,1]
	v_mov_b32_e32 v41, v3
	v_mov_b32_e32 v35, v5
	v_pk_fma_f32 v[2:3], v[48:49], v[10:11], v[36:37] op_sel:[0,0,1] op_sel_hi:[1,1,0]
	v_pk_fma_f32 v[4:5], v[48:49], v[10:11], v[36:37] op_sel:[0,0,1] op_sel_hi:[1,0,0] neg_lo:[1,0,0] neg_hi:[1,0,0]
	v_pk_fma_f32 v[10:11], v[50:51], v[32:33], v[44:45] op_sel:[0,0,1] op_sel_hi:[1,1,0]
	v_pk_fma_f32 v[32:33], v[50:51], v[32:33], v[44:45] op_sel:[0,0,1] op_sel_hi:[1,0,0] neg_lo:[1,0,0] neg_hi:[1,0,0]
	;; [unrolled: 2-line block ×4, first 2 shown]
	v_pk_add_f32 v[46:47], v[30:31], v[40:41]
	v_mov_b32_e32 v3, v5
	v_mov_b32_e32 v11, v33
	v_pk_add_f32 v[4:5], v[40:41], v[34:35]
	v_pk_add_f32 v[32:33], v[40:41], v[34:35] neg_lo:[0,1] neg_hi:[0,1]
	v_mov_b32_e32 v37, v9
	v_mov_b32_e32 v45, v7
	v_pk_add_f32 v[6:7], v[46:47], v[34:35]
	v_pk_add_f32 v[8:9], v[0:1], v[2:3]
	v_pk_fma_f32 v[4:5], v[4:5], 0.5, v[30:31] op_sel_hi:[1,0,1] neg_lo:[1,0,0] neg_hi:[1,0,0]
	v_pk_mul_f32 v[30:31], v[32:33], s[2:3] op_sel_hi:[1,0]
	v_pk_add_f32 v[32:33], v[28:29], v[36:37]
	v_pk_add_f32 v[34:35], v[36:37], v[44:45]
	v_pk_add_f32 v[36:37], v[36:37], v[44:45] neg_lo:[0,1] neg_hi:[0,1]
	v_pk_add_f32 v[40:41], v[2:3], v[10:11]
	v_pk_add_f32 v[2:3], v[2:3], v[10:11] neg_lo:[0,1] neg_hi:[0,1]
	v_pk_add_f32 v[8:9], v[8:9], v[10:11]
	v_pk_add_f32 v[10:11], v[4:5], v[30:31] op_sel:[0,1] op_sel_hi:[1,0] neg_lo:[0,1] neg_hi:[0,1]
	v_pk_add_f32 v[4:5], v[4:5], v[30:31] op_sel:[0,1] op_sel_hi:[1,0]
	ds_write_b64 v27, v[6:7]
	v_pk_fma_f32 v[6:7], v[34:35], 0.5, v[28:29] op_sel_hi:[1,0,1] neg_lo:[1,0,0] neg_hi:[1,0,0]
	v_pk_mul_f32 v[28:29], v[36:37], s[2:3] op_sel_hi:[1,0]
	v_pk_add_f32 v[30:31], v[32:33], v[44:45]
	v_pk_fma_f32 v[0:1], v[40:41], 0.5, v[0:1] op_sel_hi:[1,0,1] neg_lo:[1,0,0] neg_hi:[1,0,0]
	v_pk_mul_f32 v[2:3], v[2:3], s[2:3] op_sel_hi:[1,0]
	v_mov_b32_e32 v32, v10
	v_mov_b32_e32 v33, v5
	;; [unrolled: 1-line block ×3, first 2 shown]
	v_pk_add_f32 v[10:11], v[6:7], v[28:29] op_sel:[0,1] op_sel_hi:[1,0] neg_lo:[0,1] neg_hi:[0,1]
	v_pk_add_f32 v[6:7], v[6:7], v[28:29] op_sel:[0,1] op_sel_hi:[1,0]
	v_pk_add_f32 v[28:29], v[0:1], v[2:3] op_sel:[0,1] op_sel_hi:[1,0] neg_lo:[0,1] neg_hi:[0,1]
	v_pk_add_f32 v[0:1], v[0:1], v[2:3] op_sel:[0,1] op_sel_hi:[1,0]
	v_mov_b32_e32 v2, v10
	v_mov_b32_e32 v3, v7
	ds_write_b64 v27, v[32:33] offset:2880
	ds_write_b64 v27, v[4:5] offset:5760
	ds_write_b64 v42, v[30:31]
	v_mov_b32_e32 v7, v11
	v_mov_b32_e32 v4, v28
	;; [unrolled: 1-line block ×4, first 2 shown]
	ds_write_b64 v42, v[2:3] offset:2880
	ds_write_b64 v42, v[6:7] offset:5760
	;; [unrolled: 1-line block ×5, first 2 shown]
	s_and_saveexec_b64 s[10:11], vcc
	s_cbranch_execz .LBB0_23
; %bb.22:
	v_not_b32_e32 v0, 35
	v_mov_b32_e32 v1, 0x144
	v_cndmask_b32_e32 v0, v0, v1, vcc
	v_add_lshl_u32 v16, v24, v0, 1
	v_lshl_add_u64 v[0:1], v[16:17], 3, s[8:9]
	global_load_dwordx4 v[0:3], v[0:1], off offset:2832
	v_mov_b32_e32 v4, v15
	s_waitcnt vmcnt(0)
	v_pk_mul_f32 v[4:5], v[4:5], v[0:1] op_sel_hi:[0,1]
	v_pk_mul_f32 v[6:7], v[18:19], v[2:3] op_sel:[1,0]
	v_pk_fma_f32 v[8:9], v[14:15], v[0:1], v[4:5] op_sel:[0,0,1] op_sel_hi:[1,1,0]
	v_pk_fma_f32 v[0:1], v[14:15], v[0:1], v[4:5] op_sel:[0,0,1] op_sel_hi:[0,1,0] neg_lo:[1,0,0] neg_hi:[1,0,0]
	v_pk_fma_f32 v[4:5], v[18:19], v[2:3], v[6:7] op_sel:[0,0,1] op_sel_hi:[1,1,0]
	v_pk_fma_f32 v[2:3], v[18:19], v[2:3], v[6:7] op_sel:[0,0,1] op_sel_hi:[0,1,0] neg_lo:[1,0,0] neg_hi:[1,0,0]
	v_mov_b32_e32 v9, v1
	v_mov_b32_e32 v5, v3
	v_pk_add_f32 v[0:1], v[12:13], v[8:9]
	v_pk_add_f32 v[2:3], v[8:9], v[4:5]
	v_pk_add_f32 v[6:7], v[8:9], v[4:5] neg_lo:[0,1] neg_hi:[0,1]
	v_pk_add_f32 v[0:1], v[0:1], v[4:5]
	v_pk_fma_f32 v[2:3], -0.5, v[2:3], v[12:13] op_sel_hi:[0,1,1]
	v_pk_mul_f32 v[4:5], v[6:7], s[2:3] op_sel_hi:[1,0]
	ds_write_b64 v27, v[0:1] offset:2592
	v_pk_add_f32 v[0:1], v[2:3], v[4:5] op_sel:[0,1] op_sel_hi:[1,0] neg_lo:[0,1] neg_hi:[0,1]
	v_pk_add_f32 v[2:3], v[2:3], v[4:5] op_sel:[0,1] op_sel_hi:[1,0]
	v_mov_b32_e32 v4, v0
	v_mov_b32_e32 v5, v3
	;; [unrolled: 1-line block ×3, first 2 shown]
	ds_write_b64 v27, v[4:5] offset:5472
	ds_write_b64 v27, v[2:3] offset:8352
.LBB0_23:
	s_or_b64 exec, exec, s[10:11]
	s_waitcnt lgkmcnt(0)
	s_barrier
	ds_read_b64 v[4:5], v39
	s_add_u32 s2, s8, 0x2190
	s_addc_u32 s3, s9, 0
	v_sub_u32_e32 v6, v38, v25
	v_cmp_ne_u32_e32 vcc, 0, v24
                                        ; implicit-def: $vgpr1
                                        ; implicit-def: $vgpr7
                                        ; implicit-def: $vgpr2_vgpr3
	s_and_saveexec_b64 s[8:9], vcc
	s_xor_b64 s[8:9], exec, s[8:9]
	s_cbranch_execz .LBB0_25
; %bb.24:
	v_mov_b32_e32 v25, 0
	v_lshl_add_u64 v[0:1], v[24:25], 3, s[2:3]
	global_load_dwordx2 v[0:1], v[0:1], off
	ds_read_b64 v[2:3], v6 offset:8640
	s_waitcnt lgkmcnt(0)
	v_pk_add_f32 v[8:9], v[2:3], v[4:5]
	v_pk_add_f32 v[2:3], v[4:5], v[2:3] neg_lo:[0,1] neg_hi:[0,1]
	v_pk_mul_f32 v[4:5], v[8:9], 0.5 op_sel_hi:[1,0]
	v_mul_f32_e32 v7, 0.5, v2
	v_mul_f32_e32 v11, 0.5, v3
	s_waitcnt vmcnt(0)
	v_mul_f32_e32 v2, v1, v7
	v_mov_b32_e32 v3, v0
	v_fma_f32 v10, v1, v7, v4
	v_fma_f32 v12, v5, v1, v11
	v_fma_f32 v1, v5, v1, -v11
	v_pk_mul_f32 v[4:5], v[4:5], v[2:3]
	v_pk_fma_f32 v[2:3], v[8:9], 0.5, v[2:3] op_sel_hi:[1,0,1] neg_lo:[0,0,1] neg_hi:[0,0,1]
	v_mov_b32_e32 v11, v5
	v_fma_f32 v3, -v0, v7, v12
	v_fma_f32 v0, -v0, v7, v1
	v_mov_b32_e32 v1, v2
	ds_write_b32 v39, v3 offset:4
	ds_write_b32 v6, v0 offset:8644
	v_add_f32_e32 v7, v5, v10
	v_pk_add_f32 v[0:1], v[0:1], v[10:11] neg_lo:[0,1] neg_hi:[0,1]
	v_mov_b64_e32 v[2:3], v[24:25]
                                        ; implicit-def: $vgpr4_vgpr5
.LBB0_25:
	s_andn2_saveexec_b64 s[8:9], s[8:9]
	s_cbranch_execz .LBB0_27
; %bb.26:
	v_mov_b32_e32 v0, 0
	ds_write_b32 v39, v0 offset:4
	ds_write_b32 v6, v0 offset:8644
	ds_read_b32 v2, v38 offset:4324
	s_waitcnt lgkmcnt(3)
	v_pk_add_f32 v[0:1], v[4:5], v[4:5] op_sel:[0,1] op_sel_hi:[0,1] neg_lo:[0,1] neg_hi:[0,1]
	v_add_f32_e32 v7, v4, v5
	s_waitcnt lgkmcnt(0)
	v_xor_b32_e32 v0, 0x80000000, v2
	v_mov_b64_e32 v[2:3], 0
	ds_write_b32 v38, v0 offset:4324
.LBB0_27:
	s_or_b64 exec, exec, s[8:9]
	v_mov_b32_e32 v27, 0
	s_waitcnt lgkmcnt(0)
	v_lshl_add_u64 v[4:5], v[26:27], 3, s[2:3]
	global_load_dwordx2 v[4:5], v[4:5], off
	v_lshl_add_u64 v[2:3], v[2:3], 3, s[2:3]
	global_load_dwordx2 v[8:9], v[2:3], off offset:1728
	global_load_dwordx2 v[10:11], v[2:3], off offset:2592
	;; [unrolled: 1-line block ×3, first 2 shown]
	ds_write_b32 v39, v7
	ds_write_b32 v6, v1 offset:8640
	v_lshl_add_u32 v7, v26, 3, v38
	ds_read_b64 v[0:1], v7
	ds_read_b64 v[2:3], v6 offset:7776
	v_mov_b32_e32 v15, 0.5
	v_mov_b32_e32 v16, v15
	s_waitcnt lgkmcnt(0)
	v_pk_add_f32 v[18:19], v[0:1], v[2:3]
	v_pk_add_f32 v[0:1], v[0:1], v[2:3] neg_lo:[0,1] neg_hi:[0,1]
	v_mov_b32_e32 v2, v19
	v_mov_b32_e32 v3, v0
	v_pk_mul_f32 v[2:3], v[2:3], 0.5 op_sel_hi:[1,0]
	s_waitcnt vmcnt(3)
	v_mov_b32_e32 v17, v5
	v_mov_b32_e32 v19, v2
	;; [unrolled: 1-line block ×4, first 2 shown]
	v_pk_mul_f32 v[16:17], v[18:19], v[16:17]
	s_nop 0
	v_pk_fma_f32 v[18:19], v[14:15], v[0:1], v[16:17] neg_lo:[1,0,0] neg_hi:[1,0,0]
	v_pk_fma_f32 v[0:1], v[14:15], v[0:1], v[16:17]
	v_pk_fma_f32 v[16:17], v[4:5], v[2:3], v[18:19] op_sel_hi:[0,1,1] neg_lo:[1,0,0] neg_hi:[1,0,0]
	v_pk_fma_f32 v[18:19], v[4:5], v[2:3], v[0:1] op_sel_hi:[0,1,1]
	v_pk_fma_f32 v[0:1], v[4:5], v[2:3], v[0:1] op_sel_hi:[0,1,1] neg_lo:[1,0,0] neg_hi:[1,0,0]
	v_mov_b32_e32 v19, v1
	ds_write_b64 v7, v[18:19]
	ds_write_b64 v6, v[16:17] offset:7776
	ds_read_b64 v[0:1], v39 offset:1728
	ds_read_b64 v[2:3], v6 offset:6912
	v_mov_b32_e32 v4, v15
	s_waitcnt vmcnt(2)
	v_mov_b32_e32 v5, v9
	v_mov_b32_e32 v14, v9
	s_waitcnt lgkmcnt(0)
	v_pk_add_f32 v[16:17], v[0:1], v[2:3]
	v_pk_add_f32 v[0:1], v[0:1], v[2:3] neg_lo:[0,1] neg_hi:[0,1]
	v_mov_b32_e32 v2, v17
	v_mov_b32_e32 v3, v0
	v_pk_mul_f32 v[2:3], v[2:3], 0.5 op_sel_hi:[1,0]
	s_nop 0
	v_mov_b32_e32 v17, v2
	v_mov_b32_e32 v0, v3
	v_pk_mul_f32 v[4:5], v[16:17], v[4:5]
	s_nop 0
	v_pk_fma_f32 v[16:17], v[14:15], v[0:1], v[4:5] neg_lo:[1,0,0] neg_hi:[1,0,0]
	v_pk_fma_f32 v[0:1], v[14:15], v[0:1], v[4:5]
	v_pk_fma_f32 v[4:5], v[8:9], v[2:3], v[16:17] op_sel_hi:[0,1,1] neg_lo:[1,0,0] neg_hi:[1,0,0]
	v_pk_fma_f32 v[16:17], v[8:9], v[2:3], v[0:1] op_sel_hi:[0,1,1]
	v_pk_fma_f32 v[0:1], v[8:9], v[2:3], v[0:1] op_sel_hi:[0,1,1] neg_lo:[1,0,0] neg_hi:[1,0,0]
	v_mov_b32_e32 v17, v1
	ds_write_b64 v39, v[16:17] offset:1728
	ds_write_b64 v6, v[4:5] offset:6912
	ds_read_b64 v[0:1], v39 offset:2592
	ds_read_b64 v[2:3], v6 offset:6048
	v_mov_b32_e32 v4, v15
	s_waitcnt vmcnt(1)
	v_mov_b32_e32 v5, v11
	v_mov_b32_e32 v14, v11
	s_waitcnt lgkmcnt(0)
	v_pk_add_f32 v[8:9], v[0:1], v[2:3]
	v_pk_add_f32 v[0:1], v[0:1], v[2:3] neg_lo:[0,1] neg_hi:[0,1]
	v_mov_b32_e32 v2, v9
	v_mov_b32_e32 v3, v0
	v_pk_mul_f32 v[2:3], v[2:3], 0.5 op_sel_hi:[1,0]
	s_nop 0
	v_mov_b32_e32 v9, v2
	v_mov_b32_e32 v0, v3
	v_pk_mul_f32 v[4:5], v[8:9], v[4:5]
	s_nop 0
	v_pk_fma_f32 v[8:9], v[14:15], v[0:1], v[4:5] neg_lo:[1,0,0] neg_hi:[1,0,0]
	v_pk_fma_f32 v[0:1], v[14:15], v[0:1], v[4:5]
	v_pk_fma_f32 v[4:5], v[10:11], v[2:3], v[8:9] op_sel_hi:[0,1,1] neg_lo:[1,0,0] neg_hi:[1,0,0]
	v_pk_fma_f32 v[8:9], v[10:11], v[2:3], v[0:1] op_sel_hi:[0,1,1]
	v_pk_fma_f32 v[0:1], v[10:11], v[2:3], v[0:1] op_sel_hi:[0,1,1] neg_lo:[1,0,0] neg_hi:[1,0,0]
	v_mov_b32_e32 v9, v1
	ds_write_b64 v39, v[8:9] offset:2592
	;; [unrolled: 25-line block ×3, first 2 shown]
	ds_write_b64 v6, v[4:5] offset:5184
	s_waitcnt lgkmcnt(0)
	s_barrier
	s_and_saveexec_b64 s[2:3], s[0:1]
	s_cbranch_execz .LBB0_30
; %bb.28:
	v_mul_lo_u32 v2, s5, v22
	v_mul_lo_u32 v3, s4, v23
	v_mad_u64_u32 v[0:1], s[0:1], s4, v22, 0
	v_add3_u32 v1, v1, v3, v2
	v_lshl_add_u32 v2, v24, 3, v38
	ds_read2_b64 v[4:7], v2 offset1:108
	v_lshl_add_u64 v[0:1], v[0:1], 3, s[6:7]
	v_mov_b32_e32 v25, v27
	v_lshl_add_u64 v[0:1], v[20:21], 3, v[0:1]
	v_lshl_add_u64 v[8:9], v[24:25], 3, v[0:1]
	v_add_u32_e32 v3, 0x400, v2
	s_waitcnt lgkmcnt(0)
	global_store_dwordx2 v[8:9], v[4:5], off
	ds_read2_b64 v[8:11], v3 offset0:88 offset1:196
	v_add_u32_e32 v26, 0x6c, v24
	v_lshl_add_u64 v[4:5], v[26:27], 3, v[0:1]
	v_add_u32_e32 v26, 0xd8, v24
	global_store_dwordx2 v[4:5], v[6:7], off
	v_lshl_add_u64 v[4:5], v[26:27], 3, v[0:1]
	v_add_u32_e32 v3, 0xc00, v2
	s_waitcnt lgkmcnt(0)
	global_store_dwordx2 v[4:5], v[8:9], off
	ds_read2_b64 v[4:7], v3 offset0:48 offset1:156
	v_add_u32_e32 v26, 0x144, v24
	v_lshl_add_u64 v[8:9], v[26:27], 3, v[0:1]
	v_add_u32_e32 v26, 0x1b0, v24
	global_store_dwordx2 v[8:9], v[10:11], off
	;; [unrolled: 9-line block ×4, first 2 shown]
	v_lshl_add_u64 v[8:9], v[26:27], 3, v[0:1]
	v_add_u32_e32 v26, 0x3cc, v24
	s_movk_i32 s0, 0x6b
	s_waitcnt lgkmcnt(0)
	global_store_dwordx2 v[8:9], v[4:5], off
	v_lshl_add_u64 v[4:5], v[26:27], 3, v[0:1]
	v_cmp_eq_u32_e32 vcc, s0, v24
	global_store_dwordx2 v[4:5], v[6:7], off
	s_and_b64 exec, exec, vcc
	s_cbranch_execz .LBB0_30
; %bb.29:
	ds_read_b64 v[2:3], v2 offset:7784
	v_add_co_u32_e32 v0, vcc, 0x2000, v0
	s_nop 1
	v_addc_co_u32_e32 v1, vcc, 0, v1, vcc
	s_waitcnt lgkmcnt(0)
	global_store_dwordx2 v[0:1], v[2:3], off offset:448
.LBB0_30:
	s_endpgm
	.section	.rodata,"a",@progbits
	.p2align	6, 0x0
	.amdhsa_kernel fft_rtc_back_len1080_factors_6_10_6_3_wgs_216_tpt_108_halfLds_sp_op_CI_CI_unitstride_sbrr_R2C_dirReg
		.amdhsa_group_segment_fixed_size 0
		.amdhsa_private_segment_fixed_size 0
		.amdhsa_kernarg_size 104
		.amdhsa_user_sgpr_count 2
		.amdhsa_user_sgpr_dispatch_ptr 0
		.amdhsa_user_sgpr_queue_ptr 0
		.amdhsa_user_sgpr_kernarg_segment_ptr 1
		.amdhsa_user_sgpr_dispatch_id 0
		.amdhsa_user_sgpr_kernarg_preload_length 0
		.amdhsa_user_sgpr_kernarg_preload_offset 0
		.amdhsa_user_sgpr_private_segment_size 0
		.amdhsa_uses_dynamic_stack 0
		.amdhsa_enable_private_segment 0
		.amdhsa_system_sgpr_workgroup_id_x 1
		.amdhsa_system_sgpr_workgroup_id_y 0
		.amdhsa_system_sgpr_workgroup_id_z 0
		.amdhsa_system_sgpr_workgroup_info 0
		.amdhsa_system_vgpr_workitem_id 0
		.amdhsa_next_free_vgpr 74
		.amdhsa_next_free_sgpr 28
		.amdhsa_accum_offset 76
		.amdhsa_reserve_vcc 1
		.amdhsa_float_round_mode_32 0
		.amdhsa_float_round_mode_16_64 0
		.amdhsa_float_denorm_mode_32 3
		.amdhsa_float_denorm_mode_16_64 3
		.amdhsa_dx10_clamp 1
		.amdhsa_ieee_mode 1
		.amdhsa_fp16_overflow 0
		.amdhsa_tg_split 0
		.amdhsa_exception_fp_ieee_invalid_op 0
		.amdhsa_exception_fp_denorm_src 0
		.amdhsa_exception_fp_ieee_div_zero 0
		.amdhsa_exception_fp_ieee_overflow 0
		.amdhsa_exception_fp_ieee_underflow 0
		.amdhsa_exception_fp_ieee_inexact 0
		.amdhsa_exception_int_div_zero 0
	.end_amdhsa_kernel
	.text
.Lfunc_end0:
	.size	fft_rtc_back_len1080_factors_6_10_6_3_wgs_216_tpt_108_halfLds_sp_op_CI_CI_unitstride_sbrr_R2C_dirReg, .Lfunc_end0-fft_rtc_back_len1080_factors_6_10_6_3_wgs_216_tpt_108_halfLds_sp_op_CI_CI_unitstride_sbrr_R2C_dirReg
                                        ; -- End function
	.section	.AMDGPU.csdata,"",@progbits
; Kernel info:
; codeLenInByte = 7492
; NumSgprs: 34
; NumVgprs: 74
; NumAgprs: 0
; TotalNumVgprs: 74
; ScratchSize: 0
; MemoryBound: 0
; FloatMode: 240
; IeeeMode: 1
; LDSByteSize: 0 bytes/workgroup (compile time only)
; SGPRBlocks: 4
; VGPRBlocks: 9
; NumSGPRsForWavesPerEU: 34
; NumVGPRsForWavesPerEU: 74
; AccumOffset: 76
; Occupancy: 6
; WaveLimiterHint : 1
; COMPUTE_PGM_RSRC2:SCRATCH_EN: 0
; COMPUTE_PGM_RSRC2:USER_SGPR: 2
; COMPUTE_PGM_RSRC2:TRAP_HANDLER: 0
; COMPUTE_PGM_RSRC2:TGID_X_EN: 1
; COMPUTE_PGM_RSRC2:TGID_Y_EN: 0
; COMPUTE_PGM_RSRC2:TGID_Z_EN: 0
; COMPUTE_PGM_RSRC2:TIDIG_COMP_CNT: 0
; COMPUTE_PGM_RSRC3_GFX90A:ACCUM_OFFSET: 18
; COMPUTE_PGM_RSRC3_GFX90A:TG_SPLIT: 0
	.text
	.p2alignl 6, 3212836864
	.fill 256, 4, 3212836864
	.type	__hip_cuid_3b617dc0a1dfe20d,@object ; @__hip_cuid_3b617dc0a1dfe20d
	.section	.bss,"aw",@nobits
	.globl	__hip_cuid_3b617dc0a1dfe20d
__hip_cuid_3b617dc0a1dfe20d:
	.byte	0                               ; 0x0
	.size	__hip_cuid_3b617dc0a1dfe20d, 1

	.ident	"AMD clang version 19.0.0git (https://github.com/RadeonOpenCompute/llvm-project roc-6.4.0 25133 c7fe45cf4b819c5991fe208aaa96edf142730f1d)"
	.section	".note.GNU-stack","",@progbits
	.addrsig
	.addrsig_sym __hip_cuid_3b617dc0a1dfe20d
	.amdgpu_metadata
---
amdhsa.kernels:
  - .agpr_count:     0
    .args:
      - .actual_access:  read_only
        .address_space:  global
        .offset:         0
        .size:           8
        .value_kind:     global_buffer
      - .offset:         8
        .size:           8
        .value_kind:     by_value
      - .actual_access:  read_only
        .address_space:  global
        .offset:         16
        .size:           8
        .value_kind:     global_buffer
      - .actual_access:  read_only
        .address_space:  global
        .offset:         24
        .size:           8
        .value_kind:     global_buffer
      - .actual_access:  read_only
        .address_space:  global
        .offset:         32
        .size:           8
        .value_kind:     global_buffer
      - .offset:         40
        .size:           8
        .value_kind:     by_value
      - .actual_access:  read_only
        .address_space:  global
        .offset:         48
        .size:           8
        .value_kind:     global_buffer
      - .actual_access:  read_only
        .address_space:  global
        .offset:         56
        .size:           8
        .value_kind:     global_buffer
      - .offset:         64
        .size:           4
        .value_kind:     by_value
      - .actual_access:  read_only
        .address_space:  global
        .offset:         72
        .size:           8
        .value_kind:     global_buffer
      - .actual_access:  read_only
        .address_space:  global
        .offset:         80
        .size:           8
        .value_kind:     global_buffer
      - .actual_access:  read_only
        .address_space:  global
        .offset:         88
        .size:           8
        .value_kind:     global_buffer
      - .actual_access:  write_only
        .address_space:  global
        .offset:         96
        .size:           8
        .value_kind:     global_buffer
    .group_segment_fixed_size: 0
    .kernarg_segment_align: 8
    .kernarg_segment_size: 104
    .language:       OpenCL C
    .language_version:
      - 2
      - 0
    .max_flat_workgroup_size: 216
    .name:           fft_rtc_back_len1080_factors_6_10_6_3_wgs_216_tpt_108_halfLds_sp_op_CI_CI_unitstride_sbrr_R2C_dirReg
    .private_segment_fixed_size: 0
    .sgpr_count:     34
    .sgpr_spill_count: 0
    .symbol:         fft_rtc_back_len1080_factors_6_10_6_3_wgs_216_tpt_108_halfLds_sp_op_CI_CI_unitstride_sbrr_R2C_dirReg.kd
    .uniform_work_group_size: 1
    .uses_dynamic_stack: false
    .vgpr_count:     74
    .vgpr_spill_count: 0
    .wavefront_size: 64
amdhsa.target:   amdgcn-amd-amdhsa--gfx950
amdhsa.version:
  - 1
  - 2
...

	.end_amdgpu_metadata
